;; amdgpu-corpus repo=llvm/llvm-project kind=harvested arch=n/a opt=n/a
// NOTE: Assertions have been autogenerated by utils/update_mc_test_checks.py UTC_ARGS: --unique --sort --version 6
// RUN: not llvm-mc -triple=amdgcn -mcpu=gfx942 %s -filetype=null 2>&1 | FileCheck %s --check-prefix=NOGFX942 --implicit-check-not=error:

image_atomic_add v4, v192, s[28:35] dmask:0x1 unorm glc
// NOGFX942: :[[@LINE-1]]:1: error: instruction not supported on this GPU (gfx942): image_atomic_add

image_atomic_and v4, v192, s[28:35] dmask:0x1 unorm
// NOGFX942: :[[@LINE-1]]:1: error: instruction not supported on this GPU (gfx942): image_atomic_and

image_atomic_cmpswap v[4:5], v[192:195], s[28:35] dmask:0x3 unorm glc
// NOGFX942: :[[@LINE-1]]:1: error: instruction not supported on this GPU (gfx942): image_atomic_cmpswap

image_atomic_dec v4, v192, s[28:35] dmask:0x1 unorm
// NOGFX942: :[[@LINE-1]]:1: error: instruction not supported on this GPU (gfx942): image_atomic_dec

image_atomic_inc v4, v192, s[28:35] dmask:0x1 unorm
// NOGFX942: :[[@LINE-1]]:1: error: instruction not supported on this GPU (gfx942): image_atomic_inc

image_atomic_or v4, v192, s[28:35] dmask:0x1 unorm
// NOGFX942: :[[@LINE-1]]:1: error: instruction not supported on this GPU (gfx942): image_atomic_or

image_atomic_smax v4, v192, s[28:35] dmask:0x1 unorm
// NOGFX942: :[[@LINE-1]]:1: error: instruction not supported on this GPU (gfx942): image_atomic_smax

image_atomic_smin v4, v192, s[28:35] dmask:0x1 unorm
// NOGFX942: :[[@LINE-1]]:1: error: instruction not supported on this GPU (gfx942): image_atomic_smin

image_atomic_sub v4, v192, s[28:35] dmask:0x1 unorm
// NOGFX942: :[[@LINE-1]]:1: error: instruction not supported on this GPU (gfx942): image_atomic_sub

image_atomic_swap v4, v[192:195], s[28:35] dmask:0x1 unorm glc
// NOGFX942: :[[@LINE-1]]:1: error: instruction not supported on this GPU (gfx942): image_atomic_swap

image_atomic_umax v4, v192, s[28:35] dmask:0x1 unorm
// NOGFX942: :[[@LINE-1]]:1: error: instruction not supported on this GPU (gfx942): image_atomic_umax

image_atomic_umin v4, v192, s[28:35] dmask:0x1 unorm
// NOGFX942: :[[@LINE-1]]:1: error: instruction not supported on this GPU (gfx942): image_atomic_umin

image_atomic_xor v4, v192, s[28:35] dmask:0x1 unorm
// NOGFX942: :[[@LINE-1]]:1: error: instruction not supported on this GPU (gfx942): image_atomic_xor

image_gather4 v[5:8], v[1:4], s[8:15], s[12:15] dmask:0x2
// NOGFX942: :[[@LINE-1]]:1: error: instruction not supported on this GPU (gfx942): image_gather4

image_get_resinfo v5, v1, s[8:15] dmask:0x1
// NOGFX942: :[[@LINE-1]]:1: error: instruction not supported on this GPU (gfx942): image_get_resinfo

image_load v[4:6], v[238:241], s[28:35] dmask:0x7 unorm
// NOGFX942: :[[@LINE-1]]:1: error: instruction not supported on this GPU (gfx942): image_load

image_load_mip v5, v[0:3], s[8:15]
// NOGFX942: :[[@LINE-1]]:1: error: instruction not supported on this GPU (gfx942): image_load_mip

image_load_mip_pck v5, v1, s[8:15] dmask:0x1
// NOGFX942: :[[@LINE-1]]:1: error: instruction not supported on this GPU (gfx942): image_load_mip_pck

image_load_mip_pck_sgn v[4:5], v[0:3], s[8:15] dmask:0x5
// NOGFX942: :[[@LINE-1]]:1: error: instruction not supported on this GPU (gfx942): image_load_mip_pck_sgn

image_load_pck v5, v[0:3], s[8:15] dmask:0x1 glc
// NOGFX942: :[[@LINE-1]]:1: error: instruction not supported on this GPU (gfx942): image_load_pck

image_load_pck_sgn v5, v[0:3], s[8:15] dmask:0x1 lwe
// NOGFX942: :[[@LINE-1]]:1: error: instruction not supported on this GPU (gfx942): image_load_pck_sgn

image_sample v5, v[0:3], s[8:15], s[12:15] dmask:0x1
// NOGFX942: :[[@LINE-1]]:1: error: instruction not supported on this GPU (gfx942): image_sample

image_store v[192:194], v[238:241], s[28:35] dmask:0x7 unorm
// NOGFX942: :[[@LINE-1]]:1: error: instruction not supported on this GPU (gfx942): image_store

image_store_mip v1, v[2:5], s[12:19]
// NOGFX942: :[[@LINE-1]]:1: error: instruction not supported on this GPU (gfx942): image_store_mip

image_store_mip_pck v252, v[2:3], s[12:19] dmask:0x1 a16
// NOGFX942: :[[@LINE-1]]:1: error: instruction not supported on this GPU (gfx942): image_store_mip_pck

image_store_pck v1, v[2:5], s[12:19] dmask:0x1 unorm da
// NOGFX942: :[[@LINE-1]]:1: error: instruction not supported on this GPU (gfx942): image_store_pck
